;; amdgpu-corpus repo=ROCm/rocFFT kind=compiled arch=gfx950 opt=O3
	.text
	.amdgcn_target "amdgcn-amd-amdhsa--gfx950"
	.amdhsa_code_object_version 6
	.protected	fft_rtc_back_len343_factors_7_7_7_wgs_196_tpt_49_dim3_dp_ip_CI_sbcc_twdbase6_3step_dirReg_intrinsicReadWrite ; -- Begin function fft_rtc_back_len343_factors_7_7_7_wgs_196_tpt_49_dim3_dp_ip_CI_sbcc_twdbase6_3step_dirReg_intrinsicReadWrite
	.globl	fft_rtc_back_len343_factors_7_7_7_wgs_196_tpt_49_dim3_dp_ip_CI_sbcc_twdbase6_3step_dirReg_intrinsicReadWrite
	.p2align	8
	.type	fft_rtc_back_len343_factors_7_7_7_wgs_196_tpt_49_dim3_dp_ip_CI_sbcc_twdbase6_3step_dirReg_intrinsicReadWrite,@function
fft_rtc_back_len343_factors_7_7_7_wgs_196_tpt_49_dim3_dp_ip_CI_sbcc_twdbase6_3step_dirReg_intrinsicReadWrite: ; @fft_rtc_back_len343_factors_7_7_7_wgs_196_tpt_49_dim3_dp_ip_CI_sbcc_twdbase6_3step_dirReg_intrinsicReadWrite
; %bb.0:
	s_load_dwordx4 s[4:7], s[0:1], 0x10
	s_movk_i32 s3, 0xc0
	v_cmp_gt_u32_e32 vcc, s3, v0
	s_and_saveexec_b64 s[8:9], vcc
	s_cbranch_execz .LBB0_2
; %bb.1:
	s_load_dwordx2 s[10:11], s[0:1], 0x8
	v_lshlrev_b32_e32 v1, 4, v0
	s_waitcnt lgkmcnt(0)
	global_load_dwordx4 v[2:5], v1, s[10:11]
	v_add_u32_e32 v1, 0, v1
	v_add_u32_e32 v1, 0x55c0, v1
	s_waitcnt vmcnt(0)
	ds_write2_b64 v1, v[2:3], v[4:5] offset1:1
.LBB0_2:
	s_or_b64 exec, exec, s[8:9]
	s_waitcnt lgkmcnt(0)
	s_load_dwordx2 s[10:11], s[4:5], 0x8
	s_mov_b32 s3, 0
	s_mov_b64 s[16:17], 0
	s_waitcnt lgkmcnt(0)
	s_add_u32 s8, s10, -1
	s_addc_u32 s9, s11, -1
	s_lshr_b64 s[8:9], s[8:9], 2
	s_add_u32 s14, s8, 1
	s_addc_u32 s15, s9, 0
	v_mov_b64_e32 v[2:3], s[14:15]
	v_cmp_lt_u64_e32 vcc, s[2:3], v[2:3]
	s_cbranch_vccnz .LBB0_4
; %bb.3:
	v_cvt_f32_u32_e32 v1, s14
	s_sub_i32 s8, 0, s14
	s_mov_b32 s17, s3
	v_rcp_iflag_f32_e32 v1, v1
	s_nop 0
	v_mul_f32_e32 v1, 0x4f7ffffe, v1
	v_cvt_u32_f32_e32 v1, v1
	s_nop 0
	v_readfirstlane_b32 s9, v1
	s_mul_i32 s8, s8, s9
	s_mul_hi_u32 s8, s9, s8
	s_add_i32 s9, s9, s8
	s_mul_hi_u32 s8, s2, s9
	s_mul_i32 s12, s8, s14
	s_sub_i32 s12, s2, s12
	s_add_i32 s9, s8, 1
	s_sub_i32 s13, s12, s14
	s_cmp_ge_u32 s12, s14
	s_cselect_b32 s8, s9, s8
	s_cselect_b32 s12, s13, s12
	s_add_i32 s9, s8, 1
	s_cmp_ge_u32 s12, s14
	s_cselect_b32 s16, s9, s8
.LBB0_4:
	s_load_dwordx2 s[8:9], s[4:5], 0x10
	s_load_dwordx2 s[12:13], s[6:7], 0x8
	s_mov_b64 s[18:19], s[16:17]
	s_waitcnt lgkmcnt(0)
	v_mov_b64_e32 v[2:3], s[8:9]
	v_cmp_lt_u64_e32 vcc, s[16:17], v[2:3]
	s_cbranch_vccnz .LBB0_6
; %bb.5:
	v_cvt_f32_u32_e32 v1, s8
	s_sub_i32 s4, 0, s8
	v_rcp_iflag_f32_e32 v1, v1
	s_nop 0
	v_mul_f32_e32 v1, 0x4f7ffffe, v1
	v_cvt_u32_f32_e32 v1, v1
	s_nop 0
	v_readfirstlane_b32 s5, v1
	s_mul_i32 s4, s4, s5
	s_mul_hi_u32 s4, s5, s4
	s_add_i32 s5, s5, s4
	s_mul_hi_u32 s4, s16, s5
	s_mul_i32 s4, s4, s8
	s_sub_i32 s4, s16, s4
	s_sub_i32 s5, s4, s8
	s_cmp_ge_u32 s4, s8
	s_cselect_b32 s4, s5, s4
	s_sub_i32 s5, s4, s8
	s_cmp_ge_u32 s4, s8
	s_cselect_b32 s18, s5, s4
.LBB0_6:
	s_mul_i32 s17, s8, s15
	s_mul_hi_u32 s19, s8, s14
	s_add_i32 s17, s19, s17
	s_mul_i32 s9, s9, s14
	s_load_dwordx2 s[4:5], s[0:1], 0x50
	s_add_i32 s25, s17, s9
	s_mul_i32 s24, s8, s14
	s_load_dwordx2 s[8:9], s[6:7], 0x0
	s_load_dwordx2 s[20:21], s[6:7], 0x10
	v_mov_b64_e32 v[2:3], s[24:25]
	v_cmp_lt_u64_e32 vcc, s[2:3], v[2:3]
	s_mov_b64 s[22:23], 0
	s_cbranch_vccnz .LBB0_8
; %bb.7:
	v_cvt_f32_u32_e32 v1, s24
	s_sub_i32 s3, 0, s24
	v_rcp_iflag_f32_e32 v1, v1
	s_nop 0
	v_mul_f32_e32 v1, 0x4f7ffffe, v1
	v_cvt_u32_f32_e32 v1, v1
	s_waitcnt lgkmcnt(0)
	v_readfirstlane_b32 s9, v1
	s_mul_i32 s3, s3, s9
	s_mul_hi_u32 s3, s9, s3
	s_add_i32 s9, s9, s3
	s_mul_hi_u32 s3, s2, s9
	s_mul_i32 s17, s3, s24
	s_sub_i32 s17, s2, s17
	s_add_i32 s9, s3, 1
	s_sub_i32 s19, s17, s24
	s_cmp_ge_u32 s17, s24
	s_cselect_b32 s3, s9, s3
	s_cselect_b32 s17, s19, s17
	s_add_i32 s9, s3, 1
	s_cmp_ge_u32 s17, s24
	s_cselect_b32 s22, s9, s3
.LBB0_8:
	s_mul_i32 s3, s16, s15
	s_waitcnt lgkmcnt(0)
	s_mul_hi_u32 s9, s16, s14
	s_add_i32 s9, s9, s3
	s_mul_i32 s3, s16, s14
	s_sub_u32 s2, s2, s3
	s_subb_u32 s3, 0, s9
	v_mov_b32_e32 v1, s2
	s_lshl_b64 s[14:15], s[2:3], 2
	v_alignbit_b32 v1, s3, v1, 30
	v_mul_lo_u32 v1, s12, v1
	s_mul_hi_u32 s2, s12, s14
	v_add_u32_e32 v1, s2, v1
	s_mul_i32 s2, s13, s14
	v_add_u32_e32 v3, s2, v1
	s_mul_i32 s2, s12, s14
	v_mov_b32_e32 v2, s2
	s_load_dwordx2 s[2:3], s[6:7], 0x18
	s_mul_i32 s9, s21, s18
	s_mul_hi_u32 s6, s20, s18
	s_add_i32 s7, s6, s9
	s_mul_i32 s6, s20, s18
	v_lshl_add_u64 v[2:3], s[6:7], 0, v[2:3]
	s_waitcnt lgkmcnt(0)
	s_mul_i32 s3, s3, s22
	s_mul_hi_u32 s6, s2, s22
	s_add_i32 s3, s6, s3
	s_mul_i32 s2, s2, s22
	v_lshl_add_u64 v[52:53], s[2:3], 0, v[2:3]
	s_add_u32 s2, s14, 4
	v_and_b32_e32 v30, 3, v0
	s_addc_u32 s3, s15, 0
	v_mov_b64_e32 v[2:3], s[10:11]
	v_or_b32_e32 v50, s14, v30
	v_mov_b32_e32 v51, s15
	v_cmp_le_u64_e32 vcc, s[2:3], v[2:3]
	v_mad_u64_u32 v[54:55], s[2:3], s12, v30, 0
	v_cmp_gt_u64_e64 s[2:3], s[10:11], v[50:51]
	v_mov_b64_e32 v[8:9], 0
	v_lshrrev_b32_e32 v1, 2, v0
	s_or_b64 s[26:27], vcc, s[2:3]
	v_mov_b64_e32 v[4:5], v[8:9]
	v_mov_b64_e32 v[2:3], v[8:9]
	s_and_saveexec_b64 s[2:3], s[26:27]
	s_cbranch_execz .LBB0_10
; %bb.9:
	v_mul_lo_u32 v2, s8, v1
	v_add3_u32 v2, v52, v54, v2
	v_mov_b32_e32 v3, 0
	v_lshl_add_u64 v[2:3], v[2:3], 4, s[4:5]
	global_load_dwordx4 v[2:5], v[2:3], off
.LBB0_10:
	s_or_b64 exec, exec, s[2:3]
	v_mov_b64_e32 v[6:7], v[8:9]
	s_and_saveexec_b64 s[2:3], s[26:27]
	s_cbranch_execz .LBB0_12
; %bb.11:
	v_add_u32_e32 v6, 49, v1
	v_mul_lo_u32 v6, s8, v6
	v_add3_u32 v6, v52, v54, v6
	v_mov_b32_e32 v7, 0
	v_lshl_add_u64 v[6:7], v[6:7], 4, s[4:5]
	global_load_dwordx4 v[6:9], v[6:7], off
.LBB0_12:
	s_or_b64 exec, exec, s[2:3]
	v_mov_b64_e32 v[12:13], 0
	v_mov_b64_e32 v[16:17], v[12:13]
	v_mov_b64_e32 v[14:15], v[12:13]
	s_and_saveexec_b64 s[2:3], s[26:27]
	s_cbranch_execz .LBB0_14
; %bb.13:
	v_add_u32_e32 v10, 0x62, v1
	v_mul_lo_u32 v10, s8, v10
	v_add3_u32 v10, v52, v54, v10
	v_mov_b32_e32 v11, 0
	v_lshl_add_u64 v[10:11], v[10:11], 4, s[4:5]
	global_load_dwordx4 v[14:17], v[10:11], off
.LBB0_14:
	s_or_b64 exec, exec, s[2:3]
	v_mov_b64_e32 v[10:11], v[12:13]
	s_and_saveexec_b64 s[2:3], s[26:27]
	s_cbranch_execz .LBB0_16
; %bb.15:
	v_add_u32_e32 v10, 0x93, v1
	v_mul_lo_u32 v10, s8, v10
	v_add3_u32 v10, v52, v54, v10
	v_mov_b32_e32 v11, 0
	v_lshl_add_u64 v[10:11], v[10:11], 4, s[4:5]
	global_load_dwordx4 v[10:13], v[10:11], off
.LBB0_16:
	s_or_b64 exec, exec, s[2:3]
	v_mov_b64_e32 v[24:25], 0
	v_mov_b64_e32 v[20:21], v[24:25]
	;; [unrolled: 1-line block ×3, first 2 shown]
	s_and_saveexec_b64 s[2:3], s[26:27]
	s_cbranch_execz .LBB0_18
; %bb.17:
	v_add_u32_e32 v18, 0xc4, v1
	v_mul_lo_u32 v18, s8, v18
	v_add3_u32 v18, v52, v54, v18
	v_mov_b32_e32 v19, 0
	v_lshl_add_u64 v[18:19], v[18:19], 4, s[4:5]
	global_load_dwordx4 v[18:21], v[18:19], off
.LBB0_18:
	s_or_b64 exec, exec, s[2:3]
	s_load_dwordx2 s[24:25], s[0:1], 0x0
	v_mov_b64_e32 v[22:23], v[24:25]
	s_and_saveexec_b64 s[0:1], s[26:27]
	s_cbranch_execz .LBB0_20
; %bb.19:
	v_add_u32_e32 v22, 0xf5, v1
	v_mul_lo_u32 v22, s8, v22
	v_add3_u32 v22, v52, v54, v22
	v_mov_b32_e32 v23, 0
	v_lshl_add_u64 v[22:23], v[22:23], 4, s[4:5]
	global_load_dwordx4 v[22:25], v[22:23], off
.LBB0_20:
	s_or_b64 exec, exec, s[0:1]
	v_mov_b64_e32 v[28:29], 0
	v_mov_b64_e32 v[26:27], v[28:29]
	s_and_saveexec_b64 s[0:1], s[26:27]
	s_cbranch_execz .LBB0_22
; %bb.21:
	v_add_u32_e32 v26, 0x126, v1
	v_mul_lo_u32 v26, s8, v26
	v_add3_u32 v26, v52, v54, v26
	v_mov_b32_e32 v27, 0
	v_lshl_add_u64 v[26:27], v[26:27], 4, s[4:5]
	global_load_dwordx4 v[26:29], v[26:27], off
.LBB0_22:
	s_or_b64 exec, exec, s[0:1]
	s_waitcnt vmcnt(0)
	v_add_f64 v[32:33], v[6:7], v[26:27]
	v_add_f64 v[6:7], v[6:7], -v[26:27]
	v_add_f64 v[26:27], v[14:15], v[22:23]
	v_add_f64 v[34:35], v[8:9], v[28:29]
	v_add_f64 v[8:9], v[8:9], -v[28:29]
	v_add_f64 v[28:29], v[16:17], v[24:25]
	v_add_f64 v[14:15], v[14:15], -v[22:23]
	;; [unrolled: 2-line block ×5, first 2 shown]
	v_add_f64 v[20:21], v[28:29], v[34:35]
	v_add_f64 v[18:19], v[22:23], v[18:19]
	v_add_f64 v[20:21], v[24:25], v[20:21]
	v_add_f64 v[2:3], v[2:3], v[18:19]
	s_mov_b32 s10, 0x37e14327
	s_mov_b32 s0, 0x36b3c0b5
	;; [unrolled: 1-line block ×5, first 2 shown]
	v_add_f64 v[36:37], v[26:27], -v[32:33]
	v_add_f64 v[38:39], v[28:29], -v[34:35]
	;; [unrolled: 1-line block ×6, first 2 shown]
	v_add_f64 v[40:41], v[10:11], v[14:15]
	v_add_f64 v[42:43], v[12:13], v[16:17]
	v_add_f64 v[44:45], v[10:11], -v[14:15]
	v_add_f64 v[46:47], v[12:13], -v[16:17]
	;; [unrolled: 1-line block ×4, first 2 shown]
	v_add_f64 v[4:5], v[4:5], v[20:21]
	s_mov_b32 s11, 0x3fe948f6
	s_mov_b32 s1, 0x3fac98ee
	;; [unrolled: 1-line block ×5, first 2 shown]
	v_mov_b64_e32 v[48:49], v[2:3]
	s_mov_b32 s6, 0x5476071b
	s_mov_b32 s22, 0xb247c609
	v_add_f64 v[10:11], v[6:7], -v[10:11]
	v_add_f64 v[12:13], v[8:9], -v[12:13]
	v_add_f64 v[6:7], v[40:41], v[6:7]
	v_add_f64 v[8:9], v[42:43], v[8:9]
	v_mul_f64 v[22:23], v[32:33], s[10:11]
	v_mul_f64 v[24:25], v[34:35], s[10:11]
	;; [unrolled: 1-line block ×8, first 2 shown]
	v_fmac_f64_e32 v[48:49], s[16:17], v[18:19]
	v_mov_b64_e32 v[18:19], v[4:5]
	s_mov_b32 s7, 0x3fe77f67
	s_mov_b32 s15, 0xbfe77f67
	;; [unrolled: 1-line block ×7, first 2 shown]
	v_fmac_f64_e32 v[18:19], s[16:17], v[20:21]
	v_fma_f64 v[20:21], v[36:37], s[6:7], -v[32:33]
	v_fma_f64 v[32:33], v[38:39], s[6:7], -v[34:35]
	;; [unrolled: 1-line block ×3, first 2 shown]
	v_fmac_f64_e32 v[22:23], s[0:1], v[26:27]
	v_fma_f64 v[26:27], v[38:39], s[14:15], -v[24:25]
	v_fmac_f64_e32 v[24:25], s[0:1], v[28:29]
	v_fma_f64 v[28:29], v[14:15], s[2:3], -v[40:41]
	v_fmac_f64_e32 v[40:41], s[22:23], v[10:11]
	v_fma_f64 v[36:37], v[16:17], s[2:3], -v[42:43]
	v_fmac_f64_e32 v[42:43], s[22:23], v[12:13]
	v_fma_f64 v[38:39], v[10:11], s[20:21], -v[44:45]
	v_fma_f64 v[44:45], v[12:13], s[20:21], -v[46:47]
	s_mov_b32 s19, 0xbfdc38aa
	v_mul_u32_u24_e32 v31, 0x1c0, v1
	v_lshlrev_b32_e32 v53, 4, v30
	v_add_f64 v[46:47], v[22:23], v[48:49]
	v_add_f64 v[56:57], v[24:25], v[18:19]
	;; [unrolled: 1-line block ×6, first 2 shown]
	v_fmac_f64_e32 v[40:41], s[18:19], v[6:7]
	v_fmac_f64_e32 v[42:43], s[18:19], v[8:9]
	;; [unrolled: 1-line block ×6, first 2 shown]
	v_add3_u32 v30, 0, v31, v53
	v_add_f64 v[6:7], v[42:43], v[46:47]
	v_add_f64 v[8:9], v[56:57], -v[40:41]
	v_add_f64 v[10:11], v[44:45], v[24:25]
	v_add_f64 v[12:13], v[26:27], -v[38:39]
	v_add_f64 v[14:15], v[20:21], -v[36:37]
	v_add_f64 v[16:17], v[28:29], v[22:23]
	v_add_f64 v[18:19], v[36:37], v[20:21]
	v_add_f64 v[20:21], v[22:23], -v[28:29]
	v_add_f64 v[22:23], v[24:25], -v[44:45]
	v_add_f64 v[24:25], v[38:39], v[26:27]
	v_add_f64 v[26:27], v[46:47], -v[42:43]
	v_add_f64 v[28:29], v[40:41], v[56:57]
	ds_write_b128 v30, v[2:5]
	ds_write_b128 v30, v[6:9] offset:64
	ds_write_b128 v30, v[10:13] offset:128
	;; [unrolled: 1-line block ×6, first 2 shown]
	v_mul_lo_u16_e32 v2, 37, v1
	v_mov_b32_e32 v3, 7
	v_mul_lo_u16_sdwa v2, v2, v3 dst_sel:DWORD dst_unused:UNUSED_PAD src0_sel:BYTE_1 src1_sel:DWORD
	v_sub_u16_e32 v2, v1, v2
	v_and_b32_e32 v55, 0xff, v2
	v_mul_u32_u24_e32 v2, 6, v55
	v_lshlrev_b32_e32 v26, 4, v2
	s_waitcnt lgkmcnt(0)
	s_barrier
	global_load_dwordx4 v[2:5], v26, s[24:25]
	global_load_dwordx4 v[6:9], v26, s[24:25] offset:16
	global_load_dwordx4 v[10:13], v26, s[24:25] offset:32
	;; [unrolled: 1-line block ×5, first 2 shown]
	s_movk_i32 s9, 0xfe80
	v_mad_i32_i24 v51, v1, s9, v30
	ds_read_b128 v[26:29], v51
	ds_read_b128 v[30:33], v51 offset:3136
	ds_read_b128 v[34:37], v51 offset:6272
	;; [unrolled: 1-line block ×5, first 2 shown]
	s_waitcnt vmcnt(5) lgkmcnt(4)
	v_mul_f64 v[56:57], v[32:33], v[4:5]
	v_mul_f64 v[4:5], v[30:31], v[4:5]
	v_fmac_f64_e32 v[56:57], v[30:31], v[2:3]
	v_fma_f64 v[30:31], v[32:33], v[2:3], -v[4:5]
	ds_read_b128 v[2:5], v51 offset:18816
	s_waitcnt vmcnt(4) lgkmcnt(4)
	v_mul_f64 v[32:33], v[36:37], v[8:9]
	v_mul_f64 v[8:9], v[34:35], v[8:9]
	v_fmac_f64_e32 v[32:33], v[34:35], v[6:7]
	v_fma_f64 v[6:7], v[36:37], v[6:7], -v[8:9]
	s_waitcnt vmcnt(3) lgkmcnt(3)
	v_mul_f64 v[8:9], v[40:41], v[12:13]
	v_mul_f64 v[12:13], v[38:39], v[12:13]
	v_fmac_f64_e32 v[8:9], v[38:39], v[10:11]
	v_fma_f64 v[10:11], v[40:41], v[10:11], -v[12:13]
	;; [unrolled: 5-line block ×4, first 2 shown]
	s_waitcnt vmcnt(0) lgkmcnt(0)
	v_mul_f64 v[20:21], v[4:5], v[24:25]
	v_fmac_f64_e32 v[20:21], v[2:3], v[22:23]
	v_mul_f64 v[2:3], v[2:3], v[24:25]
	v_fma_f64 v[2:3], v[4:5], v[22:23], -v[2:3]
	v_add_f64 v[4:5], v[56:57], v[20:21]
	v_add_f64 v[24:25], v[32:33], v[16:17]
	v_add_f64 v[22:23], v[30:31], v[2:3]
	v_add_f64 v[2:3], v[30:31], -v[2:3]
	v_add_f64 v[30:31], v[6:7], v[18:19]
	v_add_f64 v[16:17], v[32:33], -v[16:17]
	v_add_f64 v[6:7], v[6:7], -v[18:19]
	v_add_f64 v[18:19], v[8:9], v[12:13]
	v_add_f64 v[32:33], v[10:11], v[14:15]
	v_add_f64 v[8:9], v[12:13], -v[8:9]
	v_add_f64 v[10:11], v[14:15], -v[10:11]
	v_add_f64 v[12:13], v[24:25], v[4:5]
	v_add_f64 v[20:21], v[56:57], -v[20:21]
	v_add_f64 v[14:15], v[30:31], v[22:23]
	v_add_f64 v[34:35], v[24:25], -v[4:5]
	v_add_f64 v[38:39], v[4:5], -v[18:19]
	v_add_f64 v[4:5], v[8:9], v[16:17]
	v_add_f64 v[40:41], v[10:11], v[6:7]
	;; [unrolled: 1-line block ×3, first 2 shown]
	v_add_f64 v[24:25], v[18:19], -v[24:25]
	v_add_f64 v[42:43], v[8:9], -v[16:17]
	;; [unrolled: 1-line block ×7, first 2 shown]
	v_add_f64 v[14:15], v[32:33], v[14:15]
	v_add_f64 v[18:19], v[4:5], v[20:21]
	v_add_f64 v[20:21], v[40:41], v[2:3]
	v_add_f64 v[2:3], v[26:27], v[12:13]
	v_add_f64 v[36:37], v[30:31], -v[22:23]
	v_add_f64 v[22:23], v[22:23], -v[32:33]
	;; [unrolled: 1-line block ×3, first 2 shown]
	v_add_f64 v[4:5], v[28:29], v[14:15]
	v_mov_b64_e32 v[46:47], v[2:3]
	v_mul_f64 v[26:27], v[38:39], s[10:11]
	v_mul_f64 v[22:23], v[22:23], s[10:11]
	;; [unrolled: 1-line block ×5, first 2 shown]
	v_fmac_f64_e32 v[46:47], s[16:17], v[12:13]
	v_mov_b64_e32 v[12:13], v[4:5]
	v_mul_f64 v[40:41], v[44:45], s[12:13]
	v_mul_f64 v[42:43], v[16:17], s[2:3]
	;; [unrolled: 1-line block ×3, first 2 shown]
	v_fmac_f64_e32 v[12:13], s[16:17], v[14:15]
	v_fma_f64 v[14:15], v[34:35], s[6:7], -v[28:29]
	v_fma_f64 v[28:29], v[36:37], s[6:7], -v[32:33]
	v_fma_f64 v[32:33], v[34:35], s[14:15], -v[26:27]
	v_fmac_f64_e32 v[26:27], s[0:1], v[24:25]
	v_fma_f64 v[24:25], v[36:37], s[14:15], -v[22:23]
	v_fmac_f64_e32 v[22:23], s[0:1], v[30:31]
	v_fma_f64 v[30:31], v[16:17], s[2:3], -v[38:39]
	v_fma_f64 v[34:35], v[6:7], s[2:3], -v[40:41]
	v_fmac_f64_e32 v[40:41], s[22:23], v[10:11]
	v_fma_f64 v[36:37], v[8:9], s[20:21], -v[42:43]
	v_fma_f64 v[42:43], v[10:11], s[20:21], -v[44:45]
	v_add_f64 v[28:29], v[28:29], v[12:13]
	v_fmac_f64_e32 v[30:31], s[18:19], v[18:19]
	v_fmac_f64_e32 v[40:41], s[18:19], v[20:21]
	;; [unrolled: 1-line block ×4, first 2 shown]
	v_add_f64 v[16:17], v[30:31], v[28:29]
	v_add_f64 v[20:21], v[28:29], -v[30:31]
	v_mul_u32_u24_e32 v30, 0x925, v0
	v_mov_b32_e32 v31, 49
	v_mul_lo_u16_sdwa v30, v30, v31 dst_sel:DWORD dst_unused:UNUSED_PAD src0_sel:WORD_1 src1_sel:DWORD
	v_fmac_f64_e32 v[38:39], s[22:23], v[8:9]
	v_add_lshl_u32 v30, v30, v55, 6
	v_add_f64 v[26:27], v[26:27], v[46:47]
	v_add_f64 v[44:45], v[22:23], v[12:13]
	;; [unrolled: 1-line block ×5, first 2 shown]
	v_fmac_f64_e32 v[38:39], s[18:19], v[18:19]
	v_fmac_f64_e32 v[36:37], s[18:19], v[18:19]
	v_add3_u32 v30, 0, v30, v53
	v_add_f64 v[6:7], v[40:41], v[26:27]
	v_add_f64 v[8:9], v[44:45], -v[38:39]
	v_add_f64 v[10:11], v[42:43], v[32:33]
	v_add_f64 v[12:13], v[24:25], -v[36:37]
	v_add_f64 v[14:15], v[22:23], -v[34:35]
	v_add_f64 v[18:19], v[34:35], v[22:23]
	v_add_f64 v[22:23], v[32:33], -v[42:43]
	v_add_f64 v[24:25], v[36:37], v[24:25]
	;; [unrolled: 2-line block ×3, first 2 shown]
	s_barrier
	ds_write_b128 v30, v[2:5]
	ds_write_b128 v30, v[6:9] offset:448
	ds_write_b128 v30, v[10:13] offset:896
	;; [unrolled: 1-line block ×6, first 2 shown]
	s_waitcnt lgkmcnt(0)
	s_barrier
	s_and_saveexec_b64 s[28:29], s[26:27]
	s_cbranch_execz .LBB0_24
; %bb.23:
	v_mul_lo_u16_e32 v2, 21, v1
	v_lshrrev_b16_e32 v2, 10, v2
	v_mul_lo_u16_e32 v2, 49, v2
	v_sub_u16_e32 v1, v1, v2
	v_and_b32_e32 v1, 0xff, v1
	v_mul_u32_u24_e32 v2, 6, v1
	v_lshlrev_b32_e32 v26, 4, v2
	global_load_dwordx4 v[6:9], v26, s[24:25] offset:704
	global_load_dwordx4 v[2:5], v26, s[24:25] offset:720
	;; [unrolled: 1-line block ×6, first 2 shown]
	s_movk_i32 s24, 0xffcf
	v_add_u32_e32 v53, 0x126, v1
	ds_read_b128 v[34:37], v51 offset:9408
	ds_read_b128 v[26:29], v51 offset:6272
	;; [unrolled: 1-line block ×6, first 2 shown]
	ds_read_b128 v[56:59], v51
	v_mul_lo_u32 v51, v50, s24
	v_mul_lo_u32 v53, v53, v50
	v_lshrrev_b32_e32 v60, 2, v53
	v_add_u32_e32 v61, v53, v51
	s_add_i32 s9, 0, 0x55c0
	v_and_b32_e32 v55, 63, v53
	v_and_b32_e32 v60, 0x3f0, v60
	v_lshrrev_b32_e32 v63, 2, v61
	v_add_u32_e32 v86, v61, v51
	v_lshl_add_u32 v55, v55, 4, 0
	v_and_b32_e32 v62, 63, v61
	v_lshrrev_b32_e32 v61, 8, v61
	v_add_u32_e32 v60, s9, v60
	v_and_b32_e32 v64, 0x3f0, v63
	v_and_b32_e32 v65, 63, v86
	v_lshrrev_b32_e32 v66, 2, v86
	v_lshl_add_u32 v80, v62, 4, 0
	v_and_b32_e32 v72, 0x3f0, v61
	ds_read_b128 v[60:63], v60 offset:1024
	v_add_u32_e32 v81, s9, v64
	v_lshl_add_u32 v88, v65, 4, 0
	v_and_b32_e32 v82, 0x3f0, v66
	ds_read_b128 v[64:67], v55 offset:21952
	v_lshrrev_b32_e32 v53, 8, v53
	v_and_b32_e32 v53, 0x3f0, v53
	v_add_u32_e32 v53, s9, v53
	ds_read_b128 v[68:71], v53 offset:2048
	v_add_u32_e32 v53, s9, v72
	ds_read_b128 v[72:75], v53 offset:2048
	s_waitcnt lgkmcnt(2)
	v_mul_f64 v[76:77], v[66:67], v[62:63]
	v_mul_f64 v[78:79], v[64:65], v[62:63]
	v_fma_f64 v[76:77], v[64:65], v[60:61], -v[76:77]
	v_fmac_f64_e32 v[78:79], v[66:67], v[60:61]
	ds_read_b128 v[60:63], v80 offset:21952
	ds_read_b128 v[64:67], v81 offset:1024
	v_add_u32_e32 v82, s9, v82
	v_add_u32_e32 v87, v86, v51
	v_and_b32_e32 v55, 63, v87
	v_lshrrev_b32_e32 v53, 2, v87
	s_waitcnt lgkmcnt(0)
	v_mul_f64 v[80:81], v[62:63], v[66:67]
	v_mul_f64 v[66:67], v[60:61], v[66:67]
	v_fma_f64 v[80:81], v[60:61], v[64:65], -v[80:81]
	v_fmac_f64_e32 v[66:67], v[62:63], v[64:65]
	ds_read_b128 v[60:63], v82 offset:1024
	v_lshl_add_u32 v55, v55, 4, 0
	v_and_b32_e32 v53, 0x3f0, v53
	v_add_u32_e32 v53, s9, v53
	s_waitcnt vmcnt(5)
	v_mul_f64 v[64:65], v[36:37], v[8:9]
	v_mul_f64 v[8:9], v[34:35], v[8:9]
	s_waitcnt vmcnt(4)
	v_mul_f64 v[82:83], v[32:33], v[4:5]
	v_fmac_f64_e32 v[64:65], v[34:35], v[6:7]
	v_fma_f64 v[34:35], v[36:37], v[6:7], -v[8:9]
	v_mul_f64 v[4:5], v[30:31], v[4:5]
	s_waitcnt vmcnt(3)
	v_mul_f64 v[36:37], v[28:29], v[12:13]
	v_mul_f64 v[6:7], v[26:27], v[12:13]
	v_fmac_f64_e32 v[82:83], v[30:31], v[2:3]
	v_fma_f64 v[30:31], v[32:33], v[2:3], -v[4:5]
	s_waitcnt vmcnt(2)
	v_mul_f64 v[2:3], v[38:39], v[16:17]
	v_fmac_f64_e32 v[36:37], v[26:27], v[10:11]
	v_fma_f64 v[26:27], v[28:29], v[10:11], -v[6:7]
	v_lshrrev_b32_e32 v10, 8, v87
	v_mul_f64 v[84:85], v[40:41], v[16:17]
	s_waitcnt vmcnt(1)
	v_mul_f64 v[4:5], v[46:47], v[24:25]
	v_fma_f64 v[28:29], v[40:41], v[14:15], -v[2:3]
	s_waitcnt vmcnt(0)
	v_mul_f64 v[40:41], v[44:45], v[20:21]
	v_mul_f64 v[2:3], v[42:43], v[20:21]
	v_and_b32_e32 v10, 0x3f0, v10
	v_fmac_f64_e32 v[84:85], v[38:39], v[14:15]
	v_fma_f64 v[38:39], v[48:49], v[22:23], -v[4:5]
	v_fmac_f64_e32 v[40:41], v[42:43], v[18:19]
	v_fma_f64 v[42:43], v[44:45], v[18:19], -v[2:3]
	ds_read_b128 v[2:5], v55 offset:21952
	ds_read_b128 v[6:9], v53 offset:1024
	v_add_u32_e32 v18, s9, v10
	ds_read_b128 v[10:13], v88 offset:21952
	v_mul_f64 v[32:33], v[48:49], v[24:25]
	v_fmac_f64_e32 v[32:33], v[46:47], v[22:23]
	v_lshrrev_b32_e32 v14, 8, v86
	v_and_b32_e32 v14, 0x3f0, v14
	s_waitcnt lgkmcnt(0)
	v_mul_f64 v[22:23], v[12:13], v[62:63]
	v_fma_f64 v[44:45], v[10:11], v[60:61], -v[22:23]
	v_mul_f64 v[46:47], v[10:11], v[62:63]
	v_mul_f64 v[10:11], v[4:5], v[8:9]
	v_add_u32_e32 v22, v87, v51
	v_fmac_f64_e32 v[46:47], v[12:13], v[60:61]
	v_fma_f64 v[48:49], v[2:3], v[6:7], -v[10:11]
	v_mul_f64 v[60:61], v[2:3], v[8:9]
	v_and_b32_e32 v2, 63, v22
	v_add_u32_e32 v51, v22, v51
	v_lshl_add_u32 v10, v2, 4, 0
	v_lshrrev_b32_e32 v2, 2, v22
	v_lshrrev_b32_e32 v3, 8, v51
	v_and_b32_e32 v2, 0x3f0, v2
	v_and_b32_e32 v3, 0x3f0, v3
	v_add_u32_e32 v14, s9, v14
	v_fmac_f64_e32 v[60:61], v[4:5], v[6:7]
	v_add_u32_e32 v2, s9, v2
	v_add_u32_e32 v6, s9, v3
	ds_read_b128 v[14:17], v14 offset:2048
	ds_read_b128 v[18:21], v18 offset:2048
	;; [unrolled: 1-line block ×5, first 2 shown]
	v_lshrrev_b32_e32 v22, 8, v22
	v_and_b32_e32 v22, 0x3f0, v22
	v_add_u32_e32 v22, s9, v22
	ds_read_b128 v[22:25], v22 offset:2048
	s_waitcnt lgkmcnt(1)
	v_mul_f64 v[62:63], v[12:13], v[4:5]
	v_mul_f64 v[86:87], v[10:11], v[4:5]
	v_fma_f64 v[62:63], v[10:11], v[2:3], -v[62:63]
	v_fmac_f64_e32 v[86:87], v[12:13], v[2:3]
	v_mul_f64 v[2:3], v[78:79], v[70:71]
	v_fma_f64 v[10:11], v[68:69], v[76:77], -v[2:3]
	v_mul_f64 v[2:3], v[76:77], v[70:71]
	v_mul_f64 v[4:5], v[66:67], v[74:75]
	v_fmac_f64_e32 v[2:3], v[68:69], v[78:79]
	v_fma_f64 v[68:69], v[72:73], v[80:81], -v[4:5]
	v_mul_f64 v[70:71], v[80:81], v[74:75]
	v_mul_f64 v[4:5], v[46:47], v[16:17]
	v_fmac_f64_e32 v[70:71], v[72:73], v[66:67]
	;; [unrolled: 4-line block ×3, first 2 shown]
	v_fma_f64 v[46:47], v[18:19], v[48:49], -v[4:5]
	v_mul_f64 v[48:49], v[48:49], v[20:21]
	v_fmac_f64_e32 v[48:49], v[18:19], v[60:61]
	v_add_f64 v[14:15], v[36:37], -v[84:85]
	v_add_f64 v[16:17], v[36:37], v[84:85]
	v_add_f64 v[18:19], v[32:33], -v[40:41]
	v_add_f64 v[20:21], v[32:33], v[40:41]
	v_add_f64 v[36:37], v[26:27], v[28:29]
	;; [unrolled: 1-line block ×3, first 2 shown]
	v_add_f64 v[4:5], v[82:83], -v[64:65]
	v_add_f64 v[32:33], v[34:35], v[30:31]
	v_add_f64 v[60:61], v[36:37], v[40:41]
	;; [unrolled: 1-line block ×3, first 2 shown]
	v_add_f64 v[30:31], v[30:31], -v[34:35]
	v_add_f64 v[26:27], v[26:27], -v[28:29]
	;; [unrolled: 1-line block ×3, first 2 shown]
	v_add_f64 v[34:35], v[4:5], v[14:15]
	v_add_f64 v[38:39], v[4:5], -v[14:15]
	v_add_f64 v[42:43], v[18:19], -v[4:5]
	;; [unrolled: 1-line block ×3, first 2 shown]
	v_add_f64 v[58:59], v[58:59], v[60:61]
	v_add_f64 v[74:75], v[32:33], -v[36:37]
	v_mul_f64 v[32:33], v[4:5], s[10:11]
	v_add_f64 v[12:13], v[64:65], v[82:83]
	v_add_f64 v[64:65], v[16:17], v[20:21]
	v_fma_f64 v[60:61], s[16:17], v[60:61], v[58:59]
	v_fma_f64 v[4:5], s[0:1], v[74:75], v[32:33]
	v_add_f64 v[64:65], v[12:13], v[64:65]
	v_add_f64 v[76:77], v[4:5], v[60:61]
	v_add_f64 v[4:5], v[20:21], -v[12:13]
	v_add_f64 v[56:57], v[56:57], v[64:65]
	v_add_f64 v[78:79], v[12:13], -v[16:17]
	v_mul_f64 v[12:13], v[4:5], s[10:11]
	v_fma_f64 v[64:65], s[16:17], v[64:65], v[56:57]
	v_fma_f64 v[4:5], s[0:1], v[78:79], v[12:13]
	v_add_f64 v[80:81], v[4:5], v[64:65]
	v_add_f64 v[4:5], v[30:31], v[26:27]
	;; [unrolled: 1-line block ×3, first 2 shown]
	v_add_f64 v[4:5], v[30:31], -v[26:27]
	v_mul_f64 v[38:39], v[38:39], s[12:13]
	v_mul_f64 v[84:85], v[4:5], s[12:13]
	v_add_f64 v[30:31], v[28:29], -v[30:31]
	v_add_f64 v[34:35], v[34:35], v[18:19]
	v_fma_f64 v[72:73], s[22:23], v[42:43], v[38:39]
	v_fma_f64 v[88:89], s[22:23], v[30:31], v[84:85]
	v_fmac_f64_e32 v[72:73], s[18:19], v[34:35]
	v_fmac_f64_e32 v[88:89], s[18:19], v[82:83]
	v_add_f64 v[90:91], v[72:73], v[76:77]
	v_add_f64 v[92:93], v[80:81], -v[88:89]
	v_mul_f64 v[4:5], v[92:93], v[2:3]
	v_mul_f64 v[2:3], v[90:91], v[2:3]
	v_add_f64 v[14:15], v[14:15], -v[18:19]
	v_fma_f64 v[4:5], v[90:91], v[10:11], -v[4:5]
	v_fmac_f64_e32 v[2:3], v[92:93], v[10:11]
	v_mul_f64 v[10:11], v[14:15], s[2:3]
	v_add_f64 v[16:17], v[16:17], -v[20:21]
	v_add_f64 v[20:21], v[26:27], -v[28:29]
	v_fma_f64 v[42:43], v[42:43], s[20:21], -v[10:11]
	v_add_f64 v[18:19], v[36:37], -v[40:41]
	v_mul_f64 v[10:11], v[20:21], s[2:3]
	v_fma_f64 v[26:27], v[30:31], s[20:21], -v[10:11]
	v_fma_f64 v[10:11], v[18:19], s[14:15], -v[32:33]
	v_add_f64 v[28:29], v[10:11], v[60:61]
	v_fma_f64 v[10:11], v[16:17], s[14:15], -v[12:13]
	v_add_f64 v[30:31], v[10:11], v[64:65]
	v_fmac_f64_e32 v[26:27], s[18:19], v[82:83]
	v_fmac_f64_e32 v[42:43], s[18:19], v[34:35]
	v_add_f64 v[32:33], v[30:31], -v[26:27]
	v_add_f64 v[10:11], v[42:43], v[28:29]
	v_mul_f64 v[12:13], v[32:33], v[70:71]
	v_fma_f64 v[12:13], v[10:11], v[68:69], -v[12:13]
	v_mul_f64 v[10:11], v[10:11], v[70:71]
	v_fmac_f64_e32 v[10:11], v[32:33], v[68:69]
	v_mul_f64 v[32:33], v[74:75], s[0:1]
	v_fma_f64 v[18:19], v[18:19], s[6:7], -v[32:33]
	v_fma_f64 v[32:33], v[14:15], s[2:3], -v[38:39]
	v_mul_f64 v[14:15], v[78:79], s[0:1]
	v_fma_f64 v[20:21], v[20:21], s[2:3], -v[84:85]
	v_fma_f64 v[14:15], v[16:17], s[6:7], -v[14:15]
	v_fmac_f64_e32 v[32:33], s[18:19], v[34:35]
	v_fmac_f64_e32 v[20:21], s[18:19], v[82:83]
	v_add_f64 v[34:35], v[14:15], v[64:65]
	v_add_f64 v[18:19], v[18:19], v[60:61]
	;; [unrolled: 1-line block ×3, first 2 shown]
	v_add_f64 v[14:15], v[18:19], -v[32:33]
	v_mul_f64 v[16:17], v[36:37], v[44:45]
	s_movk_i32 s0, 0x14f
	v_fma_f64 v[16:17], v[14:15], v[66:67], -v[16:17]
	v_mul_f64 v[14:15], v[14:15], v[44:45]
	v_add_f64 v[18:19], v[32:33], v[18:19]
	v_add_f64 v[32:33], v[34:35], -v[20:21]
	v_mul_u32_u24_sdwa v0, v0, s0 dst_sel:DWORD dst_unused:UNUSED_PAD src0_sel:WORD_0 src1_sel:DWORD
	s_movk_i32 s0, 0x157
	v_add_f64 v[34:35], v[28:29], -v[42:43]
	s_waitcnt lgkmcnt(0)
	v_mul_f64 v[28:29], v[86:87], v[24:25]
	v_add_f64 v[38:39], v[26:27], v[30:31]
	v_mul_f64 v[30:31], v[62:63], v[24:25]
	v_fmac_f64_e32 v[14:15], v[36:37], v[66:67]
	v_mul_lo_u16_sdwa v0, v0, s0 dst_sel:DWORD dst_unused:UNUSED_PAD src0_sel:WORD_1 src1_sel:DWORD
	v_fma_f64 v[36:37], v[22:23], v[62:63], -v[28:29]
	v_fmac_f64_e32 v[30:31], v[22:23], v[86:87]
	v_lshrrev_b32_e32 v22, 2, v51
	v_add_u32_e32 v44, v0, v1
	v_and_b32_e32 v0, 63, v51
	v_and_b32_e32 v22, 0x3f0, v22
	v_lshl_add_u32 v0, v0, 4, 0
	v_add_u32_e32 v26, s9, v22
	ds_read_b128 v[22:25], v0 offset:21952
	ds_read_b128 v[26:29], v26 offset:1024
	v_mul_f64 v[20:21], v[32:33], v[48:49]
	v_fma_f64 v[20:21], v[18:19], v[46:47], -v[20:21]
	v_mul_f64 v[18:19], v[18:19], v[48:49]
	v_fmac_f64_e32 v[18:19], v[32:33], v[46:47]
	v_mul_f64 v[32:33], v[38:39], v[30:31]
	v_fma_f64 v[32:33], v[34:35], v[36:37], -v[32:33]
	v_mul_f64 v[30:31], v[34:35], v[30:31]
	s_waitcnt lgkmcnt(0)
	v_mul_f64 v[34:35], v[24:25], v[28:29]
	v_fma_f64 v[34:35], v[22:23], v[26:27], -v[34:35]
	v_mul_f64 v[22:23], v[22:23], v[28:29]
	v_fmac_f64_e32 v[22:23], v[24:25], v[26:27]
	v_mul_f64 v[28:29], v[34:35], v[8:9]
	v_mul_f64 v[24:25], v[22:23], v[8:9]
	v_fmac_f64_e32 v[28:29], v[6:7], v[22:23]
	v_add_f64 v[22:23], v[88:89], v[80:81]
	v_fma_f64 v[24:25], v[6:7], v[34:35], -v[24:25]
	v_add_f64 v[26:27], v[76:77], -v[72:73]
	v_mul_f64 v[6:7], v[28:29], v[22:23]
	v_fma_f64 v[8:9], v[24:25], v[26:27], -v[6:7]
	v_mul_f64 v[6:7], v[28:29], v[26:27]
	v_mul_lo_u32 v1, v1, v50
	v_fmac_f64_e32 v[6:7], v[24:25], v[22:23]
	v_lshrrev_b32_e32 v22, 8, v1
	v_and_b32_e32 v23, 63, v1
	v_lshrrev_b32_e32 v1, 2, v1
	v_and_b32_e32 v22, 0x3f0, v22
	v_and_b32_e32 v1, 0x3f0, v1
	v_add_u32_e32 v22, s9, v22
	v_lshl_add_u32 v26, v23, 4, 0
	v_add_u32_e32 v1, s9, v1
	v_fmac_f64_e32 v[30:31], v[38:39], v[36:37]
	ds_read_b128 v[22:25], v22 offset:2048
	ds_read_b128 v[26:29], v26 offset:21952
	ds_read_b128 v[34:37], v1 offset:1024
	v_add_u32_e32 v0, v52, v54
	v_mad_u64_u32 v[38:39], s[0:1], s8, v44, v[0:1]
	v_mov_b32_e32 v39, 0
	s_waitcnt lgkmcnt(0)
	v_mul_f64 v[42:43], v[28:29], v[36:37]
	v_fma_f64 v[42:43], v[26:27], v[34:35], -v[42:43]
	v_mul_f64 v[26:27], v[26:27], v[36:37]
	v_fmac_f64_e32 v[26:27], v[34:35], v[28:29]
	v_mul_f64 v[34:35], v[24:25], v[42:43]
	v_mul_f64 v[28:29], v[24:25], v[26:27]
	v_fmac_f64_e32 v[34:35], v[22:23], v[26:27]
	v_fma_f64 v[28:29], v[22:23], v[42:43], -v[28:29]
	v_mul_f64 v[22:23], v[56:57], v[34:35]
	v_fma_f64 v[24:25], v[58:59], v[28:29], -v[22:23]
	v_mul_f64 v[22:23], v[58:59], v[34:35]
	v_lshl_add_u64 v[40:41], v[38:39], 4, s[4:5]
	v_fmac_f64_e32 v[22:23], v[56:57], v[28:29]
	v_add_u32_e32 v1, 49, v44
	global_store_dwordx4 v[40:41], v[22:25], off
	s_nop 1
	v_mad_u64_u32 v[22:23], s[0:1], s8, v1, v[0:1]
	v_mov_b32_e32 v23, v39
	v_lshl_add_u64 v[22:23], v[22:23], 4, s[4:5]
	v_add_u32_e32 v1, 0x62, v44
	global_store_dwordx4 v[22:23], v[6:9], off
	s_nop 1
	v_mad_u64_u32 v[6:7], s[0:1], s8, v1, v[0:1]
	v_mov_b32_e32 v7, v39
	v_lshl_add_u64 v[6:7], v[6:7], 4, s[4:5]
	v_add_u32_e32 v1, 0x93, v44
	global_store_dwordx4 v[6:7], v[30:33], off
	v_mad_u64_u32 v[6:7], s[0:1], s8, v1, v[0:1]
	v_mov_b32_e32 v7, v39
	v_lshl_add_u64 v[6:7], v[6:7], 4, s[4:5]
	v_add_u32_e32 v1, 0xc4, v44
	global_store_dwordx4 v[6:7], v[18:21], off
	;; [unrolled: 5-line block ×3, first 2 shown]
	v_mad_u64_u32 v[6:7], s[0:1], s8, v1, v[0:1]
	v_add_u32_e32 v1, 0x126, v44
	v_mad_u64_u32 v[0:1], s[0:1], s8, v1, v[0:1]
	v_mov_b32_e32 v7, v39
	v_mov_b32_e32 v1, v39
	v_lshl_add_u64 v[6:7], v[6:7], 4, s[4:5]
	v_lshl_add_u64 v[0:1], v[0:1], 4, s[4:5]
	global_store_dwordx4 v[6:7], v[10:13], off
	global_store_dwordx4 v[0:1], v[2:5], off
.LBB0_24:
	s_endpgm
	.section	.rodata,"a",@progbits
	.p2align	6, 0x0
	.amdhsa_kernel fft_rtc_back_len343_factors_7_7_7_wgs_196_tpt_49_dim3_dp_ip_CI_sbcc_twdbase6_3step_dirReg_intrinsicReadWrite
		.amdhsa_group_segment_fixed_size 0
		.amdhsa_private_segment_fixed_size 0
		.amdhsa_kernarg_size 88
		.amdhsa_user_sgpr_count 2
		.amdhsa_user_sgpr_dispatch_ptr 0
		.amdhsa_user_sgpr_queue_ptr 0
		.amdhsa_user_sgpr_kernarg_segment_ptr 1
		.amdhsa_user_sgpr_dispatch_id 0
		.amdhsa_user_sgpr_kernarg_preload_length 0
		.amdhsa_user_sgpr_kernarg_preload_offset 0
		.amdhsa_user_sgpr_private_segment_size 0
		.amdhsa_uses_dynamic_stack 0
		.amdhsa_enable_private_segment 0
		.amdhsa_system_sgpr_workgroup_id_x 1
		.amdhsa_system_sgpr_workgroup_id_y 0
		.amdhsa_system_sgpr_workgroup_id_z 0
		.amdhsa_system_sgpr_workgroup_info 0
		.amdhsa_system_vgpr_workitem_id 0
		.amdhsa_next_free_vgpr 94
		.amdhsa_next_free_sgpr 30
		.amdhsa_accum_offset 96
		.amdhsa_reserve_vcc 1
		.amdhsa_float_round_mode_32 0
		.amdhsa_float_round_mode_16_64 0
		.amdhsa_float_denorm_mode_32 3
		.amdhsa_float_denorm_mode_16_64 3
		.amdhsa_dx10_clamp 1
		.amdhsa_ieee_mode 1
		.amdhsa_fp16_overflow 0
		.amdhsa_tg_split 0
		.amdhsa_exception_fp_ieee_invalid_op 0
		.amdhsa_exception_fp_denorm_src 0
		.amdhsa_exception_fp_ieee_div_zero 0
		.amdhsa_exception_fp_ieee_overflow 0
		.amdhsa_exception_fp_ieee_underflow 0
		.amdhsa_exception_fp_ieee_inexact 0
		.amdhsa_exception_int_div_zero 0
	.end_amdhsa_kernel
	.text
.Lfunc_end0:
	.size	fft_rtc_back_len343_factors_7_7_7_wgs_196_tpt_49_dim3_dp_ip_CI_sbcc_twdbase6_3step_dirReg_intrinsicReadWrite, .Lfunc_end0-fft_rtc_back_len343_factors_7_7_7_wgs_196_tpt_49_dim3_dp_ip_CI_sbcc_twdbase6_3step_dirReg_intrinsicReadWrite
                                        ; -- End function
	.section	.AMDGPU.csdata,"",@progbits
; Kernel info:
; codeLenInByte = 5416
; NumSgprs: 36
; NumVgprs: 94
; NumAgprs: 0
; TotalNumVgprs: 94
; ScratchSize: 0
; MemoryBound: 0
; FloatMode: 240
; IeeeMode: 1
; LDSByteSize: 0 bytes/workgroup (compile time only)
; SGPRBlocks: 4
; VGPRBlocks: 11
; NumSGPRsForWavesPerEU: 36
; NumVGPRsForWavesPerEU: 94
; AccumOffset: 96
; Occupancy: 5
; WaveLimiterHint : 1
; COMPUTE_PGM_RSRC2:SCRATCH_EN: 0
; COMPUTE_PGM_RSRC2:USER_SGPR: 2
; COMPUTE_PGM_RSRC2:TRAP_HANDLER: 0
; COMPUTE_PGM_RSRC2:TGID_X_EN: 1
; COMPUTE_PGM_RSRC2:TGID_Y_EN: 0
; COMPUTE_PGM_RSRC2:TGID_Z_EN: 0
; COMPUTE_PGM_RSRC2:TIDIG_COMP_CNT: 0
; COMPUTE_PGM_RSRC3_GFX90A:ACCUM_OFFSET: 23
; COMPUTE_PGM_RSRC3_GFX90A:TG_SPLIT: 0
	.text
	.p2alignl 6, 3212836864
	.fill 256, 4, 3212836864
	.type	__hip_cuid_70cc055a10b3d6bc,@object ; @__hip_cuid_70cc055a10b3d6bc
	.section	.bss,"aw",@nobits
	.globl	__hip_cuid_70cc055a10b3d6bc
__hip_cuid_70cc055a10b3d6bc:
	.byte	0                               ; 0x0
	.size	__hip_cuid_70cc055a10b3d6bc, 1

	.ident	"AMD clang version 19.0.0git (https://github.com/RadeonOpenCompute/llvm-project roc-6.4.0 25133 c7fe45cf4b819c5991fe208aaa96edf142730f1d)"
	.section	".note.GNU-stack","",@progbits
	.addrsig
	.addrsig_sym __hip_cuid_70cc055a10b3d6bc
	.amdgpu_metadata
---
amdhsa.kernels:
  - .agpr_count:     0
    .args:
      - .actual_access:  read_only
        .address_space:  global
        .offset:         0
        .size:           8
        .value_kind:     global_buffer
      - .address_space:  global
        .offset:         8
        .size:           8
        .value_kind:     global_buffer
      - .actual_access:  read_only
        .address_space:  global
        .offset:         16
        .size:           8
        .value_kind:     global_buffer
      - .actual_access:  read_only
        .address_space:  global
        .offset:         24
        .size:           8
        .value_kind:     global_buffer
      - .offset:         32
        .size:           8
        .value_kind:     by_value
      - .actual_access:  read_only
        .address_space:  global
        .offset:         40
        .size:           8
        .value_kind:     global_buffer
      - .actual_access:  read_only
        .address_space:  global
        .offset:         48
        .size:           8
        .value_kind:     global_buffer
      - .offset:         56
        .size:           4
        .value_kind:     by_value
      - .actual_access:  read_only
        .address_space:  global
        .offset:         64
        .size:           8
        .value_kind:     global_buffer
      - .actual_access:  read_only
        .address_space:  global
        .offset:         72
        .size:           8
        .value_kind:     global_buffer
      - .address_space:  global
        .offset:         80
        .size:           8
        .value_kind:     global_buffer
    .group_segment_fixed_size: 0
    .kernarg_segment_align: 8
    .kernarg_segment_size: 88
    .language:       OpenCL C
    .language_version:
      - 2
      - 0
    .max_flat_workgroup_size: 196
    .name:           fft_rtc_back_len343_factors_7_7_7_wgs_196_tpt_49_dim3_dp_ip_CI_sbcc_twdbase6_3step_dirReg_intrinsicReadWrite
    .private_segment_fixed_size: 0
    .sgpr_count:     36
    .sgpr_spill_count: 0
    .symbol:         fft_rtc_back_len343_factors_7_7_7_wgs_196_tpt_49_dim3_dp_ip_CI_sbcc_twdbase6_3step_dirReg_intrinsicReadWrite.kd
    .uniform_work_group_size: 1
    .uses_dynamic_stack: false
    .vgpr_count:     94
    .vgpr_spill_count: 0
    .wavefront_size: 64
amdhsa.target:   amdgcn-amd-amdhsa--gfx950
amdhsa.version:
  - 1
  - 2
...

	.end_amdgpu_metadata
